;; amdgpu-corpus repo=ROCm/rocFFT kind=compiled arch=gfx1201 opt=O3
	.text
	.amdgcn_target "amdgcn-amd-amdhsa--gfx1201"
	.amdhsa_code_object_version 6
	.protected	fft_rtc_fwd_len26_factors_13_2_wgs_64_tpt_2_halfLds_dp_ip_CI_unitstride_sbrr_C2R_dirReg ; -- Begin function fft_rtc_fwd_len26_factors_13_2_wgs_64_tpt_2_halfLds_dp_ip_CI_unitstride_sbrr_C2R_dirReg
	.globl	fft_rtc_fwd_len26_factors_13_2_wgs_64_tpt_2_halfLds_dp_ip_CI_unitstride_sbrr_C2R_dirReg
	.p2align	8
	.type	fft_rtc_fwd_len26_factors_13_2_wgs_64_tpt_2_halfLds_dp_ip_CI_unitstride_sbrr_C2R_dirReg,@function
fft_rtc_fwd_len26_factors_13_2_wgs_64_tpt_2_halfLds_dp_ip_CI_unitstride_sbrr_C2R_dirReg: ; @fft_rtc_fwd_len26_factors_13_2_wgs_64_tpt_2_halfLds_dp_ip_CI_unitstride_sbrr_C2R_dirReg
; %bb.0:
	s_clause 0x2
	s_load_b128 s[4:7], s[0:1], 0x0
	s_load_b64 s[8:9], s[0:1], 0x50
	s_load_b64 s[10:11], s[0:1], 0x18
	v_lshrrev_b32_e32 v9, 1, v0
	v_mov_b32_e32 v3, 0
	v_mov_b32_e32 v1, 0
	;; [unrolled: 1-line block ×3, first 2 shown]
	s_delay_alu instid0(VALU_DEP_4) | instskip(NEXT) | instid1(VALU_DEP_4)
	v_lshl_or_b32 v5, ttmp9, 5, v9
	v_mov_b32_e32 v6, v3
	s_wait_kmcnt 0x0
	v_cmp_lt_u64_e64 s2, s[6:7], 2
	s_delay_alu instid0(VALU_DEP_1)
	s_and_b32 vcc_lo, exec_lo, s2
	s_cbranch_vccnz .LBB0_8
; %bb.1:
	s_load_b64 s[2:3], s[0:1], 0x10
	v_mov_b32_e32 v1, 0
	v_mov_b32_e32 v2, 0
	s_add_nc_u64 s[12:13], s[10:11], 8
	s_mov_b64 s[14:15], 1
	s_wait_kmcnt 0x0
	s_add_nc_u64 s[16:17], s[2:3], 8
	s_mov_b32 s3, 0
.LBB0_2:                                ; =>This Inner Loop Header: Depth=1
	s_load_b64 s[18:19], s[16:17], 0x0
                                        ; implicit-def: $vgpr7_vgpr8
	s_mov_b32 s2, exec_lo
	s_wait_kmcnt 0x0
	v_or_b32_e32 v4, s19, v6
	s_delay_alu instid0(VALU_DEP_1)
	v_cmpx_ne_u64_e32 0, v[3:4]
	s_wait_alu 0xfffe
	s_xor_b32 s20, exec_lo, s2
	s_cbranch_execz .LBB0_4
; %bb.3:                                ;   in Loop: Header=BB0_2 Depth=1
	s_cvt_f32_u32 s2, s18
	s_cvt_f32_u32 s21, s19
	s_sub_nc_u64 s[24:25], 0, s[18:19]
	s_wait_alu 0xfffe
	s_delay_alu instid0(SALU_CYCLE_1) | instskip(SKIP_1) | instid1(SALU_CYCLE_2)
	s_fmamk_f32 s2, s21, 0x4f800000, s2
	s_wait_alu 0xfffe
	v_s_rcp_f32 s2, s2
	s_delay_alu instid0(TRANS32_DEP_1) | instskip(SKIP_1) | instid1(SALU_CYCLE_2)
	s_mul_f32 s2, s2, 0x5f7ffffc
	s_wait_alu 0xfffe
	s_mul_f32 s21, s2, 0x2f800000
	s_wait_alu 0xfffe
	s_delay_alu instid0(SALU_CYCLE_2) | instskip(SKIP_1) | instid1(SALU_CYCLE_2)
	s_trunc_f32 s21, s21
	s_wait_alu 0xfffe
	s_fmamk_f32 s2, s21, 0xcf800000, s2
	s_cvt_u32_f32 s23, s21
	s_wait_alu 0xfffe
	s_delay_alu instid0(SALU_CYCLE_1) | instskip(SKIP_1) | instid1(SALU_CYCLE_2)
	s_cvt_u32_f32 s22, s2
	s_wait_alu 0xfffe
	s_mul_u64 s[26:27], s[24:25], s[22:23]
	s_wait_alu 0xfffe
	s_mul_hi_u32 s29, s22, s27
	s_mul_i32 s28, s22, s27
	s_mul_hi_u32 s2, s22, s26
	s_mul_i32 s30, s23, s26
	s_wait_alu 0xfffe
	s_add_nc_u64 s[28:29], s[2:3], s[28:29]
	s_mul_hi_u32 s21, s23, s26
	s_mul_hi_u32 s31, s23, s27
	s_add_co_u32 s2, s28, s30
	s_wait_alu 0xfffe
	s_add_co_ci_u32 s2, s29, s21
	s_mul_i32 s26, s23, s27
	s_add_co_ci_u32 s27, s31, 0
	s_wait_alu 0xfffe
	s_add_nc_u64 s[26:27], s[2:3], s[26:27]
	s_wait_alu 0xfffe
	v_add_co_u32 v4, s2, s22, s26
	s_delay_alu instid0(VALU_DEP_1) | instskip(SKIP_1) | instid1(VALU_DEP_1)
	s_cmp_lg_u32 s2, 0
	s_add_co_ci_u32 s23, s23, s27
	v_readfirstlane_b32 s22, v4
	s_wait_alu 0xfffe
	s_delay_alu instid0(VALU_DEP_1)
	s_mul_u64 s[24:25], s[24:25], s[22:23]
	s_wait_alu 0xfffe
	s_mul_hi_u32 s27, s22, s25
	s_mul_i32 s26, s22, s25
	s_mul_hi_u32 s2, s22, s24
	s_mul_i32 s28, s23, s24
	s_wait_alu 0xfffe
	s_add_nc_u64 s[26:27], s[2:3], s[26:27]
	s_mul_hi_u32 s21, s23, s24
	s_mul_hi_u32 s22, s23, s25
	s_wait_alu 0xfffe
	s_add_co_u32 s2, s26, s28
	s_add_co_ci_u32 s2, s27, s21
	s_mul_i32 s24, s23, s25
	s_add_co_ci_u32 s25, s22, 0
	s_wait_alu 0xfffe
	s_add_nc_u64 s[24:25], s[2:3], s[24:25]
	s_wait_alu 0xfffe
	v_add_co_u32 v4, s2, v4, s24
	s_delay_alu instid0(VALU_DEP_1) | instskip(SKIP_1) | instid1(VALU_DEP_1)
	s_cmp_lg_u32 s2, 0
	s_add_co_ci_u32 s2, s23, s25
	v_mul_hi_u32 v14, v5, v4
	s_wait_alu 0xfffe
	v_mad_co_u64_u32 v[7:8], null, v5, s2, 0
	v_mad_co_u64_u32 v[10:11], null, v6, v4, 0
	;; [unrolled: 1-line block ×3, first 2 shown]
	s_delay_alu instid0(VALU_DEP_3) | instskip(SKIP_1) | instid1(VALU_DEP_4)
	v_add_co_u32 v4, vcc_lo, v14, v7
	s_wait_alu 0xfffd
	v_add_co_ci_u32_e32 v7, vcc_lo, 0, v8, vcc_lo
	s_delay_alu instid0(VALU_DEP_2) | instskip(SKIP_1) | instid1(VALU_DEP_2)
	v_add_co_u32 v4, vcc_lo, v4, v10
	s_wait_alu 0xfffd
	v_add_co_ci_u32_e32 v4, vcc_lo, v7, v11, vcc_lo
	s_wait_alu 0xfffd
	v_add_co_ci_u32_e32 v7, vcc_lo, 0, v13, vcc_lo
	s_delay_alu instid0(VALU_DEP_2) | instskip(SKIP_1) | instid1(VALU_DEP_2)
	v_add_co_u32 v4, vcc_lo, v4, v12
	s_wait_alu 0xfffd
	v_add_co_ci_u32_e32 v10, vcc_lo, 0, v7, vcc_lo
	s_delay_alu instid0(VALU_DEP_2) | instskip(SKIP_1) | instid1(VALU_DEP_3)
	v_mul_lo_u32 v11, s19, v4
	v_mad_co_u64_u32 v[7:8], null, s18, v4, 0
	v_mul_lo_u32 v12, s18, v10
	s_delay_alu instid0(VALU_DEP_2) | instskip(NEXT) | instid1(VALU_DEP_2)
	v_sub_co_u32 v7, vcc_lo, v5, v7
	v_add3_u32 v8, v8, v12, v11
	s_delay_alu instid0(VALU_DEP_1) | instskip(SKIP_1) | instid1(VALU_DEP_1)
	v_sub_nc_u32_e32 v11, v6, v8
	s_wait_alu 0xfffd
	v_subrev_co_ci_u32_e64 v11, s2, s19, v11, vcc_lo
	v_add_co_u32 v12, s2, v4, 2
	s_wait_alu 0xf1ff
	v_add_co_ci_u32_e64 v13, s2, 0, v10, s2
	v_sub_co_u32 v14, s2, v7, s18
	v_sub_co_ci_u32_e32 v8, vcc_lo, v6, v8, vcc_lo
	s_wait_alu 0xf1ff
	v_subrev_co_ci_u32_e64 v11, s2, 0, v11, s2
	s_delay_alu instid0(VALU_DEP_3) | instskip(NEXT) | instid1(VALU_DEP_3)
	v_cmp_le_u32_e32 vcc_lo, s18, v14
	v_cmp_eq_u32_e64 s2, s19, v8
	s_wait_alu 0xfffd
	v_cndmask_b32_e64 v14, 0, -1, vcc_lo
	v_cmp_le_u32_e32 vcc_lo, s19, v11
	s_wait_alu 0xfffd
	v_cndmask_b32_e64 v15, 0, -1, vcc_lo
	v_cmp_le_u32_e32 vcc_lo, s18, v7
	;; [unrolled: 3-line block ×3, first 2 shown]
	s_wait_alu 0xfffd
	v_cndmask_b32_e64 v16, 0, -1, vcc_lo
	v_cmp_eq_u32_e32 vcc_lo, s19, v11
	s_wait_alu 0xf1ff
	s_delay_alu instid0(VALU_DEP_2)
	v_cndmask_b32_e64 v7, v16, v7, s2
	s_wait_alu 0xfffd
	v_cndmask_b32_e32 v11, v15, v14, vcc_lo
	v_add_co_u32 v14, vcc_lo, v4, 1
	s_wait_alu 0xfffd
	v_add_co_ci_u32_e32 v15, vcc_lo, 0, v10, vcc_lo
	s_delay_alu instid0(VALU_DEP_3) | instskip(SKIP_1) | instid1(VALU_DEP_2)
	v_cmp_ne_u32_e32 vcc_lo, 0, v11
	s_wait_alu 0xfffd
	v_dual_cndmask_b32 v8, v15, v13 :: v_dual_cndmask_b32 v11, v14, v12
	v_cmp_ne_u32_e32 vcc_lo, 0, v7
	s_wait_alu 0xfffd
	s_delay_alu instid0(VALU_DEP_2)
	v_dual_cndmask_b32 v8, v10, v8 :: v_dual_cndmask_b32 v7, v4, v11
.LBB0_4:                                ;   in Loop: Header=BB0_2 Depth=1
	s_wait_alu 0xfffe
	s_and_not1_saveexec_b32 s2, s20
	s_cbranch_execz .LBB0_6
; %bb.5:                                ;   in Loop: Header=BB0_2 Depth=1
	v_cvt_f32_u32_e32 v4, s18
	s_sub_co_i32 s20, 0, s18
	s_delay_alu instid0(VALU_DEP_1) | instskip(NEXT) | instid1(TRANS32_DEP_1)
	v_rcp_iflag_f32_e32 v4, v4
	v_mul_f32_e32 v4, 0x4f7ffffe, v4
	s_delay_alu instid0(VALU_DEP_1) | instskip(SKIP_1) | instid1(VALU_DEP_1)
	v_cvt_u32_f32_e32 v4, v4
	s_wait_alu 0xfffe
	v_mul_lo_u32 v7, s20, v4
	s_delay_alu instid0(VALU_DEP_1) | instskip(NEXT) | instid1(VALU_DEP_1)
	v_mul_hi_u32 v7, v4, v7
	v_add_nc_u32_e32 v4, v4, v7
	s_delay_alu instid0(VALU_DEP_1) | instskip(NEXT) | instid1(VALU_DEP_1)
	v_mul_hi_u32 v4, v5, v4
	v_mul_lo_u32 v7, v4, s18
	v_add_nc_u32_e32 v8, 1, v4
	s_delay_alu instid0(VALU_DEP_2) | instskip(NEXT) | instid1(VALU_DEP_1)
	v_sub_nc_u32_e32 v7, v5, v7
	v_subrev_nc_u32_e32 v10, s18, v7
	v_cmp_le_u32_e32 vcc_lo, s18, v7
	s_wait_alu 0xfffd
	s_delay_alu instid0(VALU_DEP_2) | instskip(NEXT) | instid1(VALU_DEP_1)
	v_dual_cndmask_b32 v7, v7, v10 :: v_dual_cndmask_b32 v4, v4, v8
	v_cmp_le_u32_e32 vcc_lo, s18, v7
	s_delay_alu instid0(VALU_DEP_2) | instskip(SKIP_1) | instid1(VALU_DEP_1)
	v_add_nc_u32_e32 v8, 1, v4
	s_wait_alu 0xfffd
	v_dual_cndmask_b32 v7, v4, v8 :: v_dual_mov_b32 v8, v3
.LBB0_6:                                ;   in Loop: Header=BB0_2 Depth=1
	s_wait_alu 0xfffe
	s_or_b32 exec_lo, exec_lo, s2
	s_load_b64 s[20:21], s[12:13], 0x0
	s_delay_alu instid0(VALU_DEP_1)
	v_mul_lo_u32 v4, v8, s18
	v_mul_lo_u32 v12, v7, s19
	v_mad_co_u64_u32 v[10:11], null, v7, s18, 0
	s_add_nc_u64 s[14:15], s[14:15], 1
	s_add_nc_u64 s[12:13], s[12:13], 8
	s_wait_alu 0xfffe
	v_cmp_ge_u64_e64 s2, s[14:15], s[6:7]
	s_add_nc_u64 s[16:17], s[16:17], 8
	s_delay_alu instid0(VALU_DEP_2) | instskip(NEXT) | instid1(VALU_DEP_3)
	v_add3_u32 v4, v11, v12, v4
	v_sub_co_u32 v5, vcc_lo, v5, v10
	s_wait_alu 0xfffd
	s_delay_alu instid0(VALU_DEP_2) | instskip(SKIP_3) | instid1(VALU_DEP_2)
	v_sub_co_ci_u32_e32 v4, vcc_lo, v6, v4, vcc_lo
	s_and_b32 vcc_lo, exec_lo, s2
	s_wait_kmcnt 0x0
	v_mul_lo_u32 v6, s21, v5
	v_mul_lo_u32 v4, s20, v4
	v_mad_co_u64_u32 v[1:2], null, s20, v5, v[1:2]
	s_delay_alu instid0(VALU_DEP_1)
	v_add3_u32 v2, v6, v2, v4
	s_wait_alu 0xfffe
	s_cbranch_vccnz .LBB0_9
; %bb.7:                                ;   in Loop: Header=BB0_2 Depth=1
	v_dual_mov_b32 v5, v7 :: v_dual_mov_b32 v6, v8
	s_branch .LBB0_2
.LBB0_8:
	v_dual_mov_b32 v8, v6 :: v_dual_mov_b32 v7, v5
.LBB0_9:
	s_lshl_b64 s[2:3], s[6:7], 3
	v_mul_u32_u24_e32 v57, 27, v9
	s_wait_alu 0xfffe
	s_add_nc_u64 s[2:3], s[10:11], s[2:3]
	v_mov_b32_e32 v56, 0
	s_load_b64 s[2:3], s[2:3], 0x0
	s_load_b64 s[0:1], s[0:1], 0x20
	v_lshlrev_b32_e32 v32, 4, v57
	s_wait_kmcnt 0x0
	v_mul_lo_u32 v3, s2, v8
	v_mul_lo_u32 v4, s3, v7
	v_mad_co_u64_u32 v[1:2], null, s2, v7, v[1:2]
	v_cmp_gt_u64_e32 vcc_lo, s[0:1], v[7:8]
	s_delay_alu instid0(VALU_DEP_2) | instskip(SKIP_1) | instid1(VALU_DEP_2)
	v_add3_u32 v2, v4, v2, v3
	v_and_b32_e32 v4, 1, v0
	v_lshlrev_b64_e32 v[58:59], 4, v[1:2]
	s_delay_alu instid0(VALU_DEP_2)
	v_mov_b32_e32 v34, v4
	s_and_saveexec_b32 s1, vcc_lo
	s_cbranch_execz .LBB0_13
; %bb.10:
	v_lshlrev_b32_e32 v2, 4, v4
	s_delay_alu instid0(VALU_DEP_3) | instskip(SKIP_2) | instid1(VALU_DEP_3)
	v_add_co_u32 v0, s0, s8, v58
	s_wait_alu 0xf1ff
	v_add_co_ci_u32_e64 v1, s0, s9, v59, s0
	v_add3_u32 v5, 0, v32, v2
	s_delay_alu instid0(VALU_DEP_3) | instskip(SKIP_1) | instid1(VALU_DEP_3)
	v_add_co_u32 v0, s0, v0, v2
	s_wait_alu 0xf1ff
	v_add_co_ci_u32_e64 v1, s0, 0, v1, s0
	v_mov_b32_e32 v2, 0
	v_mov_b32_e32 v3, 0
	s_clause 0xc
	global_load_b128 v[6:9], v[0:1], off
	global_load_b128 v[10:13], v[0:1], off offset:32
	global_load_b128 v[14:17], v[0:1], off offset:64
	;; [unrolled: 1-line block ×12, first 2 shown]
	s_mov_b32 s2, exec_lo
	s_wait_loadcnt 0xc
	ds_store_b128 v5, v[6:9]
	s_wait_loadcnt 0xb
	ds_store_b128 v5, v[10:13] offset:32
	s_wait_loadcnt 0xa
	ds_store_b128 v5, v[14:17] offset:64
	;; [unrolled: 2-line block ×12, first 2 shown]
	v_cmpx_ne_u32_e32 0, v4
	s_cbranch_execz .LBB0_12
; %bb.11:
	global_load_b128 v[6:9], v[0:1], off offset:400
	v_mov_b32_e32 v2, v4
	v_dual_mov_b32 v56, 1 :: v_dual_mov_b32 v3, v5
	s_wait_loadcnt 0x0
	ds_store_b128 v5, v[6:9] offset:400
.LBB0_12:
	s_wait_alu 0xfffe
	s_or_b32 exec_lo, exec_lo, s2
	v_dual_mov_b32 v5, v3 :: v_dual_mov_b32 v4, v2
	v_mov_b32_e32 v34, v56
.LBB0_13:
	s_wait_alu 0xfffe
	s_or_b32 exec_lo, exec_lo, s1
	v_lshl_add_u32 v62, v57, 4, 0
	s_delay_alu instid0(VALU_DEP_2)
	v_lshlrev_b32_e32 v63, 4, v34
	global_wb scope:SCOPE_SE
	s_wait_dscnt 0x0
	s_barrier_signal -1
	s_barrier_wait -1
	global_inv scope:SCOPE_SE
	v_add_nc_u32_e32 v33, v62, v63
	v_sub_nc_u32_e32 v9, v62, v63
	v_cmp_eq_u32_e64 s0, 0, v34
	v_cmp_ne_u32_e64 s1, 0, v34
	ds_load_b64 v[5:6], v33
	ds_load_b64 v[7:8], v9 offset:416
	v_lshlrev_b32_e32 v64, 4, v4
	s_wait_dscnt 0x0
	v_add_f64_e32 v[0:1], v[5:6], v[7:8]
	v_add_f64_e64 v[2:3], v[5:6], -v[7:8]
	s_and_saveexec_b32 s2, s1
	s_wait_alu 0xfffe
	s_xor_b32 s1, exec_lo, s2
	s_cbranch_execz .LBB0_15
; %bb.14:
	global_load_b128 v[10:13], v64, s[4:5] offset:208
	ds_load_b64 v[0:1], v9 offset:424
	ds_load_b64 v[2:3], v33 offset:8
	v_add_f64_e32 v[14:15], v[5:6], v[7:8]
	v_add_f64_e64 v[16:17], v[5:6], -v[7:8]
	s_wait_dscnt 0x0
	v_add_f64_e32 v[4:5], v[0:1], v[2:3]
	v_add_f64_e64 v[0:1], v[2:3], -v[0:1]
	s_wait_loadcnt 0x0
	s_delay_alu instid0(VALU_DEP_3) | instskip(SKIP_1) | instid1(VALU_DEP_3)
	v_fma_f64 v[2:3], v[16:17], v[12:13], v[14:15]
	v_fma_f64 v[6:7], -v[16:17], v[12:13], v[14:15]
	v_fma_f64 v[14:15], v[4:5], v[12:13], -v[0:1]
	v_fma_f64 v[12:13], v[4:5], v[12:13], v[0:1]
	s_delay_alu instid0(VALU_DEP_4) | instskip(NEXT) | instid1(VALU_DEP_4)
	v_fma_f64 v[0:1], -v[4:5], v[10:11], v[2:3]
	v_fma_f64 v[4:5], v[4:5], v[10:11], v[6:7]
	s_delay_alu instid0(VALU_DEP_4) | instskip(NEXT) | instid1(VALU_DEP_4)
	v_fma_f64 v[6:7], v[16:17], v[10:11], v[14:15]
	v_fma_f64 v[2:3], v[16:17], v[10:11], v[12:13]
	ds_store_b128 v9, v[4:7] offset:416
.LBB0_15:
	s_wait_alu 0xfffe
	s_and_not1_saveexec_b32 s1, s1
	s_cbranch_execz .LBB0_17
; %bb.16:
	ds_load_b128 v[4:7], v62 offset:208
	s_wait_dscnt 0x0
	v_add_f64_e32 v[4:5], v[4:5], v[4:5]
	v_mul_f64_e32 v[6:7], -2.0, v[6:7]
	ds_store_b128 v62, v[4:7] offset:208
.LBB0_17:
	s_wait_alu 0xfffe
	s_or_b32 exec_lo, exec_lo, s1
	s_add_nc_u64 s[2:3], s[4:5], 0xd0
	s_clause 0x1
	global_load_b128 v[4:7], v63, s[2:3] offset:32
	global_load_b128 v[10:13], v63, s[2:3] offset:64
	ds_store_b128 v33, v[0:3]
	ds_load_b128 v[0:3], v33 offset:32
	ds_load_b128 v[14:17], v9 offset:384
	global_load_b128 v[18:21], v63, s[2:3] offset:96
	s_wait_dscnt 0x0
	v_add_f64_e32 v[22:23], v[0:1], v[14:15]
	v_add_f64_e32 v[24:25], v[16:17], v[2:3]
	v_add_f64_e64 v[26:27], v[0:1], -v[14:15]
	v_add_f64_e64 v[0:1], v[2:3], -v[16:17]
	s_wait_loadcnt 0x2
	s_delay_alu instid0(VALU_DEP_2) | instskip(NEXT) | instid1(VALU_DEP_2)
	v_fma_f64 v[2:3], v[26:27], v[6:7], v[22:23]
	v_fma_f64 v[14:15], v[24:25], v[6:7], v[0:1]
	v_fma_f64 v[16:17], -v[26:27], v[6:7], v[22:23]
	v_fma_f64 v[6:7], v[24:25], v[6:7], -v[0:1]
	s_delay_alu instid0(VALU_DEP_4) | instskip(NEXT) | instid1(VALU_DEP_4)
	v_fma_f64 v[0:1], -v[24:25], v[4:5], v[2:3]
	v_fma_f64 v[2:3], v[26:27], v[4:5], v[14:15]
	s_delay_alu instid0(VALU_DEP_4) | instskip(NEXT) | instid1(VALU_DEP_4)
	v_fma_f64 v[14:15], v[24:25], v[4:5], v[16:17]
	v_fma_f64 v[16:17], v[26:27], v[4:5], v[6:7]
	ds_store_b128 v33, v[0:3] offset:32
	ds_store_b128 v9, v[14:17] offset:384
	ds_load_b128 v[0:3], v33 offset:64
	ds_load_b128 v[4:7], v9 offset:352
	global_load_b128 v[14:17], v63, s[2:3] offset:128
	s_wait_dscnt 0x0
	v_add_f64_e32 v[22:23], v[0:1], v[4:5]
	v_add_f64_e32 v[24:25], v[6:7], v[2:3]
	v_add_f64_e64 v[26:27], v[0:1], -v[4:5]
	v_add_f64_e64 v[0:1], v[2:3], -v[6:7]
	s_wait_loadcnt 0x2
	s_delay_alu instid0(VALU_DEP_2) | instskip(NEXT) | instid1(VALU_DEP_2)
	v_fma_f64 v[2:3], v[26:27], v[12:13], v[22:23]
	v_fma_f64 v[4:5], v[24:25], v[12:13], v[0:1]
	v_fma_f64 v[6:7], -v[26:27], v[12:13], v[22:23]
	v_fma_f64 v[12:13], v[24:25], v[12:13], -v[0:1]
	s_delay_alu instid0(VALU_DEP_4) | instskip(NEXT) | instid1(VALU_DEP_4)
	v_fma_f64 v[0:1], -v[24:25], v[10:11], v[2:3]
	v_fma_f64 v[2:3], v[26:27], v[10:11], v[4:5]
	s_delay_alu instid0(VALU_DEP_4) | instskip(NEXT) | instid1(VALU_DEP_4)
	v_fma_f64 v[4:5], v[24:25], v[10:11], v[6:7]
	v_fma_f64 v[6:7], v[26:27], v[10:11], v[12:13]
	ds_store_b128 v33, v[0:3] offset:64
	ds_store_b128 v9, v[4:7] offset:352
	;; [unrolled: 22-line block ×3, first 2 shown]
	ds_load_b128 v[0:3], v33 offset:128
	ds_load_b128 v[4:7], v9 offset:288
	s_wait_dscnt 0x0
	v_add_f64_e32 v[18:19], v[0:1], v[4:5]
	v_add_f64_e32 v[20:21], v[6:7], v[2:3]
	v_add_f64_e64 v[22:23], v[0:1], -v[4:5]
	v_add_f64_e64 v[0:1], v[2:3], -v[6:7]
	s_wait_loadcnt 0x1
	s_delay_alu instid0(VALU_DEP_2) | instskip(NEXT) | instid1(VALU_DEP_2)
	v_fma_f64 v[2:3], v[22:23], v[16:17], v[18:19]
	v_fma_f64 v[4:5], v[20:21], v[16:17], v[0:1]
	v_fma_f64 v[6:7], -v[22:23], v[16:17], v[18:19]
	v_fma_f64 v[16:17], v[20:21], v[16:17], -v[0:1]
	s_delay_alu instid0(VALU_DEP_4) | instskip(NEXT) | instid1(VALU_DEP_4)
	v_fma_f64 v[0:1], -v[20:21], v[14:15], v[2:3]
	v_fma_f64 v[2:3], v[22:23], v[14:15], v[4:5]
	s_delay_alu instid0(VALU_DEP_4) | instskip(NEXT) | instid1(VALU_DEP_4)
	v_fma_f64 v[4:5], v[20:21], v[14:15], v[6:7]
	v_fma_f64 v[6:7], v[22:23], v[14:15], v[16:17]
	ds_store_b128 v33, v[0:3] offset:128
	ds_store_b128 v9, v[4:7] offset:288
	ds_load_b128 v[0:3], v33 offset:160
	ds_load_b128 v[4:7], v9 offset:256
	s_wait_dscnt 0x0
	v_add_f64_e32 v[14:15], v[0:1], v[4:5]
	v_add_f64_e32 v[16:17], v[6:7], v[2:3]
	v_add_f64_e64 v[18:19], v[0:1], -v[4:5]
	v_add_f64_e64 v[0:1], v[2:3], -v[6:7]
	s_wait_loadcnt 0x0
	s_delay_alu instid0(VALU_DEP_2) | instskip(NEXT) | instid1(VALU_DEP_2)
	v_fma_f64 v[2:3], v[18:19], v[12:13], v[14:15]
	v_fma_f64 v[4:5], v[16:17], v[12:13], v[0:1]
	v_fma_f64 v[6:7], -v[18:19], v[12:13], v[14:15]
	v_fma_f64 v[12:13], v[16:17], v[12:13], -v[0:1]
	s_delay_alu instid0(VALU_DEP_4) | instskip(NEXT) | instid1(VALU_DEP_4)
	v_fma_f64 v[0:1], -v[16:17], v[10:11], v[2:3]
	v_fma_f64 v[2:3], v[18:19], v[10:11], v[4:5]
	s_delay_alu instid0(VALU_DEP_4) | instskip(NEXT) | instid1(VALU_DEP_4)
	v_fma_f64 v[4:5], v[16:17], v[10:11], v[6:7]
	v_fma_f64 v[6:7], v[18:19], v[10:11], v[12:13]
	ds_store_b128 v33, v[0:3] offset:160
	ds_store_b128 v9, v[4:7] offset:256
	s_and_saveexec_b32 s1, s0
	s_cbranch_execz .LBB0_19
; %bb.18:
	ds_load_b128 v[0:3], v62 offset:192
	ds_load_b128 v[4:7], v62 offset:224
	s_load_b128 s[12:15], s[4:5], 0x190
	s_wait_dscnt 0x0
	v_add_f64_e32 v[8:9], v[0:1], v[4:5]
	v_add_f64_e32 v[10:11], v[6:7], v[2:3]
	v_add_f64_e64 v[12:13], v[0:1], -v[4:5]
	v_add_f64_e64 v[0:1], v[2:3], -v[6:7]
	s_wait_kmcnt 0x0
	s_delay_alu instid0(VALU_DEP_2) | instskip(NEXT) | instid1(VALU_DEP_2)
	v_fma_f64 v[2:3], v[12:13], s[14:15], v[8:9]
	v_fma_f64 v[4:5], v[10:11], s[14:15], v[0:1]
	v_fma_f64 v[6:7], -v[12:13], s[14:15], v[8:9]
	v_fma_f64 v[8:9], v[10:11], s[14:15], -v[0:1]
	s_delay_alu instid0(VALU_DEP_4) | instskip(NEXT) | instid1(VALU_DEP_4)
	v_fma_f64 v[0:1], -v[10:11], s[12:13], v[2:3]
	v_fma_f64 v[2:3], v[12:13], s[12:13], v[4:5]
	s_delay_alu instid0(VALU_DEP_4) | instskip(NEXT) | instid1(VALU_DEP_4)
	v_fma_f64 v[4:5], v[10:11], s[12:13], v[6:7]
	v_fma_f64 v[6:7], v[12:13], s[12:13], v[8:9]
	ds_store_b128 v62, v[0:3] offset:192
	ds_store_b128 v62, v[4:7] offset:224
.LBB0_19:
	s_wait_alu 0xfffe
	s_or_b32 exec_lo, exec_lo, s1
	v_lshl_add_u32 v66, v34, 4, 0
	global_wb scope:SCOPE_SE
	s_wait_dscnt 0x0
	s_barrier_signal -1
	s_barrier_wait -1
	global_inv scope:SCOPE_SE
	v_add_nc_u32_e32 v65, v66, v32
	global_wb scope:SCOPE_SE
	s_barrier_signal -1
	s_barrier_wait -1
	global_inv scope:SCOPE_SE
	ds_load_b128 v[8:11], v33
	ds_load_b128 v[12:15], v65 offset:32
	ds_load_b128 v[16:19], v65 offset:64
	ds_load_b128 v[20:23], v65 offset:96
	ds_load_b128 v[4:7], v65 offset:352
	ds_load_b128 v[24:27], v65 offset:320
	s_mov_b32 s26, 0x42a4c3d2
	s_mov_b32 s27, 0xbfea55e2
	;; [unrolled: 1-line block ×16, first 2 shown]
	s_wait_dscnt 0x4
	v_add_f64_e32 v[0:1], v[8:9], v[12:13]
	v_add_f64_e32 v[2:3], v[10:11], v[14:15]
	s_wait_dscnt 0x1
	v_add_f64_e64 v[73:74], v[18:19], -v[6:7]
	v_add_f64_e64 v[75:76], v[16:17], -v[4:5]
	s_wait_dscnt 0x0
	v_add_f64_e64 v[79:80], v[20:21], -v[24:25]
	s_mov_b32 s2, 0xe00740e9
	s_mov_b32 s11, 0x3fbedb7d
	;; [unrolled: 1-line block ×6, first 2 shown]
	s_wait_alu 0xfffe
	s_mov_b32 s34, s24
	s_mov_b32 s3, 0x3fec55a7
	s_mov_b32 s15, 0xbfe7f3cc
	s_mov_b32 s17, 0xbfef11f4
	v_add_f64_e64 v[77:78], v[22:23], -v[26:27]
	s_mov_b32 s31, 0x3fefc445
	s_mov_b32 s30, s28
	;; [unrolled: 1-line block ×8, first 2 shown]
	v_mul_u32_u24_e32 v34, 0xd0, v34
	s_delay_alu instid0(VALU_DEP_1)
	v_add3_u32 v32, 0, v34, v32
	v_add_f64_e32 v[28:29], v[0:1], v[16:17]
	v_add_f64_e32 v[30:31], v[2:3], v[18:19]
	ds_load_b128 v[0:3], v65 offset:384
	v_add_f64_e32 v[16:17], v[16:17], v[4:5]
	v_add_f64_e32 v[18:19], v[18:19], v[6:7]
	v_mul_f64_e32 v[121:122], s[22:23], v[73:74]
	v_mul_f64_e32 v[123:124], s[22:23], v[75:76]
	v_mul_f64_e32 v[129:130], s[20:21], v[73:74]
	v_mul_f64_e32 v[131:132], s[20:21], v[75:76]
	v_mul_f64_e32 v[137:138], s[34:35], v[73:74]
	v_mul_f64_e32 v[139:140], s[34:35], v[75:76]
	v_mul_f64_e32 v[141:142], s[30:31], v[73:74]
	v_mul_f64_e32 v[143:144], s[30:31], v[75:76]
	v_mul_f64_e32 v[149:150], s[26:27], v[73:74]
	v_mul_f64_e32 v[151:152], s[26:27], v[75:76]
	v_mul_f64_e32 v[159:160], s[24:25], v[79:80]
	v_mul_f64_e32 v[125:126], s[20:21], v[77:78]
	v_mul_f64_e32 v[127:128], s[20:21], v[79:80]
	v_mul_f64_e32 v[133:134], s[36:37], v[77:78]
	v_mul_f64_e32 v[135:136], s[36:37], v[79:80]
	v_mul_f64_e32 v[145:146], s[26:27], v[77:78]
	v_mul_f64_e32 v[153:154], s[28:29], v[77:78]
	s_wait_dscnt 0x0
	v_add_f64_e64 v[69:70], v[14:15], -v[2:3]
	v_add_f64_e64 v[71:72], v[12:13], -v[0:1]
	v_add_f64_e32 v[81:82], v[12:13], v[0:1]
	v_add_f64_e32 v[14:15], v[14:15], v[2:3]
	v_mul_f64_e32 v[155:156], s[24:25], v[77:78]
	v_mul_f64_e32 v[147:148], s[26:27], v[79:80]
	;; [unrolled: 1-line block ×3, first 2 shown]
	v_add_f64_e32 v[60:61], v[28:29], v[20:21]
	v_add_f64_e32 v[67:68], v[30:31], v[22:23]
	ds_load_b128 v[28:31], v65 offset:288
	ds_load_b128 v[35:38], v65 offset:128
	;; [unrolled: 1-line block ×6, first 2 shown]
	v_add_f64_e32 v[22:23], v[22:23], v[26:27]
	v_add_f64_e32 v[20:21], v[20:21], v[24:25]
	v_fma_f64 v[215:216], v[18:19], s[12:13], v[123:124]
	v_fma_f64 v[219:220], v[16:17], s[16:17], -v[129:130]
	v_fma_f64 v[221:222], v[18:19], s[16:17], v[131:132]
	s_wait_alu 0xfffe
	v_fma_f64 v[225:226], v[16:17], s[14:15], -v[137:138]
	v_fma_f64 v[227:228], v[18:19], s[14:15], v[139:140]
	v_fma_f64 v[229:230], v[16:17], s[10:11], -v[141:142]
	v_fma_f64 v[231:232], v[18:19], s[10:11], v[143:144]
	;; [unrolled: 2-line block ×3, first 2 shown]
	v_fma_f64 v[129:130], v[16:17], s[16:17], v[129:130]
	v_fma_f64 v[137:138], v[16:17], s[14:15], v[137:138]
	;; [unrolled: 1-line block ×3, first 2 shown]
	v_fma_f64 v[131:132], v[18:19], s[16:17], -v[131:132]
	v_fma_f64 v[237:238], v[18:19], s[6:7], v[151:152]
	v_fma_f64 v[151:152], v[18:19], s[6:7], -v[151:152]
	s_wait_dscnt 0x4
	v_add_f64_e32 v[83:84], v[35:36], v[28:29]
	v_add_f64_e32 v[85:86], v[37:38], v[30:31]
	v_add_f64_e64 v[87:88], v[35:36], -v[28:29]
	v_add_f64_e64 v[89:90], v[37:38], -v[30:31]
	v_mul_f64_e32 v[103:104], s[26:27], v[69:70]
	v_mul_f64_e32 v[113:114], s[26:27], v[71:72]
	v_mul_f64_e32 v[105:106], s[28:29], v[69:70]
	v_mul_f64_e32 v[107:108], s[22:23], v[69:70]
	v_mul_f64_e32 v[115:116], s[28:29], v[71:72]
	v_mul_f64_e32 v[109:110], s[24:25], v[69:70]
	v_mul_f64_e32 v[117:118], s[22:23], v[71:72]
	v_mul_f64_e32 v[119:120], s[24:25], v[71:72]
	v_mul_f64_e32 v[111:112], s[18:19], v[71:72]
	v_mul_f64_e32 v[71:72], s[20:21], v[71:72]
	s_wait_dscnt 0x0
	v_add_f64_e32 v[99:100], v[47:48], v[51:52]
	v_add_f64_e64 v[101:102], v[47:48], -v[51:52]
	v_add_f64_e32 v[35:36], v[60:61], v[35:36]
	v_add_f64_e32 v[37:38], v[67:68], v[37:38]
	v_mul_f64_e32 v[67:68], s[18:19], v[69:70]
	v_mul_f64_e32 v[69:70], s[20:21], v[69:70]
	v_add_f64_e32 v[12:13], v[49:50], v[53:54]
	v_add_f64_e64 v[60:61], v[49:50], -v[53:54]
	s_mov_b32 s19, 0x3fddbe06
	v_add_f64_e32 v[91:92], v[39:40], v[43:44]
	s_wait_alu 0xfffe
	v_mul_f64_e32 v[73:74], s[18:19], v[73:74]
	v_mul_f64_e32 v[75:76], s[18:19], v[75:76]
	v_mul_f64_e32 v[77:78], s[18:19], v[77:78]
	v_mul_f64_e32 v[79:80], s[18:19], v[79:80]
	v_add_f64_e32 v[93:94], v[41:42], v[45:46]
	v_add_f64_e64 v[95:96], v[39:40], -v[43:44]
	v_add_f64_e64 v[97:98], v[41:42], -v[45:46]
	v_fma_f64 v[123:124], v[18:19], s[12:13], -v[123:124]
	v_fma_f64 v[139:140], v[18:19], s[14:15], -v[139:140]
	v_fma_f64 v[143:144], v[18:19], s[10:11], -v[143:144]
	v_fma_f64 v[217:218], v[20:21], s[16:17], -v[125:126]
	v_fma_f64 v[241:242], v[22:23], s[16:17], v[127:128]
	v_fma_f64 v[223:224], v[20:21], s[12:13], -v[133:134]
	v_fma_f64 v[233:234], v[20:21], s[6:7], -v[145:146]
	v_fma_f64 v[239:240], v[20:21], s[10:11], -v[153:154]
	v_fma_f64 v[153:154], v[20:21], s[10:11], v[153:154]
	v_mul_f64_e32 v[169:170], s[34:35], v[87:88]
	v_mul_f64_e32 v[163:164], s[34:35], v[89:90]
	v_fma_f64 v[199:200], v[81:82], s[6:7], -v[103:104]
	v_fma_f64 v[207:208], v[14:15], s[6:7], v[113:114]
	v_fma_f64 v[201:202], v[81:82], s[10:11], -v[105:106]
	v_fma_f64 v[205:206], v[81:82], s[12:13], -v[107:108]
	v_fma_f64 v[103:104], v[81:82], s[6:7], v[103:104]
	v_fma_f64 v[105:106], v[81:82], s[10:11], v[105:106]
	v_fma_f64 v[107:108], v[81:82], s[12:13], v[107:108]
	v_fma_f64 v[209:210], v[81:82], s[14:15], -v[109:110]
	v_fma_f64 v[109:110], v[81:82], s[14:15], v[109:110]
	v_fma_f64 v[211:212], v[14:15], s[14:15], v[119:120]
	;; [unrolled: 1-line block ×4, first 2 shown]
	v_add_f64_e32 v[35:36], v[35:36], v[39:40]
	v_add_f64_e32 v[37:38], v[37:38], v[41:42]
	v_fma_f64 v[197:198], v[81:82], s[2:3], -v[67:68]
	v_fma_f64 v[67:68], v[81:82], s[2:3], v[67:68]
	v_fma_f64 v[111:112], v[14:15], s[2:3], -v[111:112]
	v_fma_f64 v[113:114], v[14:15], s[6:7], -v[113:114]
	;; [unrolled: 1-line block ×3, first 2 shown]
	v_mul_f64_e32 v[161:162], s[22:23], v[89:90]
	v_mul_f64_e32 v[39:40], s[28:29], v[89:90]
	;; [unrolled: 1-line block ×10, first 2 shown]
	v_fma_f64 v[125:126], v[20:21], s[16:17], v[125:126]
	v_fma_f64 v[127:128], v[22:23], s[16:17], -v[127:128]
	v_mul_f64_e32 v[179:180], s[30:31], v[97:98]
	v_mul_f64_e32 v[187:188], s[30:31], v[95:96]
	v_mul_f64_e32 v[181:182], s[26:27], v[97:98]
	v_mul_f64_e32 v[189:190], s[26:27], v[95:96]
	v_mul_f64_e32 v[183:184], s[40:41], v[97:98]
	v_mul_f64_e32 v[195:196], s[40:41], v[95:96]
	v_mul_f64_e32 v[177:178], s[24:25], v[97:98]
	v_add_f64_e32 v[199:200], v[8:9], v[199:200]
	v_add_f64_e32 v[207:208], v[10:11], v[207:208]
	;; [unrolled: 1-line block ×14, first 2 shown]
	v_fma_f64 v[47:48], v[14:15], s[10:11], v[115:116]
	v_fma_f64 v[49:50], v[81:82], s[16:17], -v[69:70]
	v_fma_f64 v[69:70], v[81:82], s[16:17], v[69:70]
	v_fma_f64 v[81:82], v[14:15], s[12:13], v[117:118]
	v_fma_f64 v[115:116], v[14:15], s[10:11], -v[115:116]
	v_fma_f64 v[117:118], v[14:15], s[12:13], -v[117:118]
	v_fma_f64 v[14:15], v[14:15], s[16:17], -v[71:72]
	v_fma_f64 v[71:72], v[16:17], s[12:13], -v[121:122]
	v_fma_f64 v[121:122], v[16:17], s[12:13], v[121:122]
	v_add_f64_e32 v[197:198], v[8:9], v[197:198]
	v_add_f64_e32 v[67:68], v[8:9], v[67:68]
	;; [unrolled: 1-line block ×5, first 2 shown]
	v_mul_f64_e32 v[185:186], s[22:23], v[97:98]
	v_mul_f64_e32 v[97:98], s[18:19], v[97:98]
	;; [unrolled: 1-line block ×4, first 2 shown]
	global_wb scope:SCOPE_SE
	s_barrier_signal -1
	s_barrier_wait -1
	global_inv scope:SCOPE_SE
	v_add_f64_e32 v[207:208], v[215:216], v[207:208]
	v_add_f64_e32 v[201:202], v[219:220], v[201:202]
	;; [unrolled: 1-line block ×3, first 2 shown]
	v_mul_f64_e32 v[225:226], s[22:23], v[95:96]
	v_add_f64_e32 v[105:106], v[129:130], v[105:106]
	v_add_f64_e32 v[107:108], v[137:138], v[107:108]
	;; [unrolled: 1-line block ×5, first 2 shown]
	v_fma_f64 v[137:138], v[85:86], s[14:15], v[169:170]
	v_add_f64_e32 v[203:204], v[237:238], v[203:204]
	v_add_f64_e32 v[35:36], v[35:36], v[51:52]
	;; [unrolled: 1-line block ×11, first 2 shown]
	v_fma_f64 v[14:15], v[22:23], s[12:13], v[135:136]
	v_fma_f64 v[51:52], v[20:21], s[12:13], v[133:134]
	v_fma_f64 v[53:54], v[20:21], s[6:7], v[145:146]
	v_fma_f64 v[133:134], v[20:21], s[14:15], -v[155:156]
	v_fma_f64 v[145:146], v[20:21], s[14:15], v[155:156]
	v_fma_f64 v[69:70], v[22:23], s[12:13], -v[135:136]
	v_fma_f64 v[135:136], v[22:23], s[6:7], v[147:148]
	v_fma_f64 v[155:156], v[22:23], s[10:11], v[157:158]
	v_fma_f64 v[157:158], v[22:23], s[10:11], -v[157:158]
	v_fma_f64 v[147:148], v[22:23], s[6:7], -v[147:148]
	v_add_f64_e32 v[197:198], v[235:236], v[197:198]
	v_add_f64_e32 v[111:112], v[151:152], v[111:112]
	;; [unrolled: 1-line block ×6, first 2 shown]
	v_fma_f64 v[149:150], v[83:84], s[14:15], -v[163:164]
	v_add_f64_e32 v[207:208], v[241:242], v[207:208]
	v_add_f64_e32 v[201:202], v[223:224], v[201:202]
	v_fma_f64 v[151:152], v[83:84], s[10:11], -v[39:40]
	v_fma_f64 v[121:122], v[83:84], s[16:17], -v[41:42]
	v_fma_f64 v[141:142], v[85:86], s[16:17], v[173:174]
	v_fma_f64 v[39:40], v[83:84], s[10:11], v[39:40]
	v_add_f64_e32 v[209:210], v[233:234], v[209:210]
	v_fma_f64 v[41:42], v[83:84], s[16:17], v[41:42]
	v_fma_f64 v[129:130], v[83:84], s[6:7], -v[165:166]
	v_fma_f64 v[169:170], v[85:86], s[14:15], -v[169:170]
	;; [unrolled: 1-line block ×3, first 2 shown]
	v_add_f64_e32 v[35:36], v[35:36], v[43:44]
	v_add_f64_e32 v[37:38], v[37:38], v[45:46]
	v_fma_f64 v[43:44], v[22:23], s[14:15], v[159:160]
	v_fma_f64 v[45:46], v[22:23], s[14:15], -v[159:160]
	v_fma_f64 v[159:160], v[16:17], s[2:3], -v[73:74]
	v_fma_f64 v[16:17], v[16:17], s[2:3], v[73:74]
	v_fma_f64 v[73:74], v[18:19], s[2:3], v[75:76]
	v_fma_f64 v[18:19], v[18:19], s[2:3], -v[75:76]
	v_fma_f64 v[75:76], v[20:21], s[2:3], -v[77:78]
	v_add_f64_e32 v[47:48], v[221:222], v[47:48]
	v_fma_f64 v[20:21], v[20:21], s[2:3], v[77:78]
	v_fma_f64 v[77:78], v[22:23], s[2:3], v[79:80]
	v_add_f64_e32 v[81:82], v[227:228], v[81:82]
	v_add_f64_e32 v[115:116], v[131:132], v[115:116]
	v_fma_f64 v[22:23], v[22:23], s[2:3], -v[79:80]
	v_add_f64_e32 v[117:118], v[139:140], v[117:118]
	v_add_f64_e32 v[71:72], v[217:218], v[71:72]
	v_fma_f64 v[139:140], v[85:86], s[10:11], v[171:172]
	v_mul_f64_e32 v[221:222], s[24:25], v[95:96]
	v_mul_f64_e32 v[95:96], s[18:19], v[95:96]
	v_add_f64_e32 v[135:136], v[135:136], v[211:212]
	v_fma_f64 v[131:132], v[85:86], s[12:13], v[167:168]
	v_fma_f64 v[167:168], v[85:86], s[12:13], -v[167:168]
	v_fma_f64 v[171:172], v[85:86], s[10:11], -v[171:172]
	v_fma_f64 v[143:144], v[85:86], s[6:7], v[175:176]
	v_fma_f64 v[175:176], v[85:86], s[6:7], -v[175:176]
	v_add_f64_e32 v[53:54], v[53:54], v[109:110]
	v_fma_f64 v[237:238], v[83:84], s[12:13], -v[161:162]
	v_fma_f64 v[161:162], v[83:84], s[12:13], v[161:162]
	v_fma_f64 v[163:164], v[83:84], s[14:15], v[163:164]
	;; [unrolled: 1-line block ×3, first 2 shown]
	v_add_f64_e32 v[51:52], v[51:52], v[105:106]
	v_add_f64_e32 v[105:106], v[147:148], v[119:120]
	;; [unrolled: 1-line block ×6, first 2 shown]
	v_mul_f64_e32 v[79:80], s[38:39], v[60:61]
	v_add_f64_e32 v[28:29], v[35:36], v[28:29]
	v_add_f64_e32 v[30:31], v[37:38], v[30:31]
	v_mul_f64_e32 v[199:200], s[38:39], v[101:102]
	v_mul_f64_e32 v[215:216], s[22:23], v[60:61]
	v_add_f64_e32 v[49:50], v[159:160], v[49:50]
	v_add_f64_e32 v[8:9], v[16:17], v[8:9]
	;; [unrolled: 1-line block ×6, first 2 shown]
	v_fma_f64 v[47:48], v[83:84], s[2:3], -v[89:90]
	v_fma_f64 v[205:206], v[85:86], s[2:3], v[87:88]
	v_add_f64_e32 v[77:78], v[77:78], v[81:82]
	v_fma_f64 v[85:86], v[85:86], s[2:3], -v[87:88]
	v_add_f64_e32 v[69:70], v[69:70], v[115:116]
	v_add_f64_e32 v[20:21], v[20:21], v[107:108]
	v_fma_f64 v[83:84], v[83:84], s[2:3], v[89:90]
	v_add_f64_e32 v[87:88], v[239:240], v[197:198]
	v_add_f64_e32 v[89:90], v[157:158], v[111:112]
	;; [unrolled: 1-line block ×3, first 2 shown]
	v_mul_f64_e32 v[219:220], s[22:23], v[101:102]
	v_mul_f64_e32 v[227:228], s[20:21], v[60:61]
	;; [unrolled: 1-line block ×7, first 2 shown]
	v_fma_f64 v[213:214], v[91:92], s[10:11], -v[179:180]
	v_fma_f64 v[217:218], v[93:94], s[10:11], v[187:188]
	v_add_f64_e32 v[37:38], v[149:150], v[71:72]
	v_add_f64_e32 v[71:72], v[137:138], v[207:208]
	v_fma_f64 v[16:17], v[91:92], s[6:7], -v[181:182]
	v_fma_f64 v[241:242], v[93:94], s[6:7], v[189:190]
	v_fma_f64 v[18:19], v[91:92], s[16:17], -v[183:184]
	v_fma_f64 v[35:36], v[93:94], s[16:17], v[195:196]
	;; [unrolled: 2-line block ×3, first 2 shown]
	v_add_f64_e32 v[121:122], v[121:122], v[209:210]
	v_add_f64_e32 v[127:128], v[141:142], v[135:136]
	v_fma_f64 v[159:160], v[91:92], s[14:15], -v[177:178]
	v_fma_f64 v[177:178], v[91:92], s[14:15], v[177:178]
	v_fma_f64 v[179:180], v[91:92], s[10:11], v[179:180]
	v_add_f64_e32 v[49:50], v[133:134], v[49:50]
	v_add_f64_e32 v[8:9], v[145:146], v[8:9]
	;; [unrolled: 1-line block ×5, first 2 shown]
	v_fma_f64 v[181:182], v[91:92], s[6:7], v[181:182]
	v_add_f64_e32 v[47:48], v[47:48], v[201:202]
	v_add_f64_e32 v[14:15], v[205:206], v[14:15]
	;; [unrolled: 1-line block ×3, first 2 shown]
	v_fma_f64 v[183:184], v[91:92], s[16:17], v[183:184]
	v_fma_f64 v[123:124], v[91:92], s[12:13], -v[185:186]
	v_fma_f64 v[185:186], v[91:92], s[12:13], v[185:186]
	v_fma_f64 v[111:112], v[93:94], s[6:7], -v[189:190]
	v_add_f64_e32 v[24:25], v[28:29], v[24:25]
	v_fma_f64 v[28:29], v[93:94], s[12:13], v[225:226]
	v_fma_f64 v[91:92], v[91:92], s[2:3], v[97:98]
	v_add_f64_e32 v[69:70], v[85:86], v[69:70]
	v_add_f64_e32 v[20:21], v[39:40], v[20:21]
	;; [unrolled: 1-line block ×3, first 2 shown]
	v_fma_f64 v[109:110], v[93:94], s[14:15], -v[221:222]
	v_fma_f64 v[133:134], v[93:94], s[12:13], -v[225:226]
	;; [unrolled: 1-line block ×3, first 2 shown]
	v_add_f64_e32 v[87:88], v[237:238], v[87:88]
	v_add_f64_e32 v[89:90], v[167:168], v[89:90]
	;; [unrolled: 1-line block ×3, first 2 shown]
	v_fma_f64 v[115:116], v[93:94], s[16:17], -v[195:196]
	v_add_f64_e32 v[97:98], v[163:164], v[103:104]
	v_add_f64_e32 v[22:23], v[171:172], v[22:23]
	;; [unrolled: 1-line block ×3, first 2 shown]
	v_fma_f64 v[83:84], v[93:94], s[10:11], -v[187:188]
	v_add_f64_e32 v[105:106], v[169:170], v[113:114]
	v_add_f64_e32 v[67:68], v[161:162], v[67:68]
	v_fma_f64 v[53:54], v[93:94], s[14:15], v[221:222]
	v_add_f64_e32 v[119:120], v[131:132], v[119:120]
	v_add_f64_e32 v[26:27], v[30:31], v[26:27]
	v_fma_f64 v[113:114], v[99:100], s[2:3], -v[60:61]
	v_add_f64_e32 v[30:31], v[213:214], v[37:38]
	v_add_f64_e32 v[37:38], v[217:218], v[71:72]
	;; [unrolled: 1-line block ×6, first 2 shown]
	v_fma_f64 v[129:130], v[12:13], s[2:3], v[101:102]
	v_fma_f64 v[223:224], v[99:100], s[14:15], -v[191:192]
	v_fma_f64 v[81:82], v[12:13], s[14:15], v[193:194]
	v_add_f64_e32 v[16:17], v[16:17], v[47:48]
	v_add_f64_e32 v[14:15], v[241:242], v[14:15]
	v_fma_f64 v[211:212], v[99:100], s[6:7], -v[79:80]
	v_fma_f64 v[45:46], v[12:13], s[6:7], v[199:200]
	v_add_f64_e32 v[18:19], v[18:19], v[75:76]
	v_add_f64_e32 v[35:36], v[35:36], v[77:78]
	;; [unrolled: 4-line block ×3, first 2 shown]
	v_fma_f64 v[77:78], v[99:100], s[10:11], -v[229:230]
	v_add_f64_e32 v[69:70], v[111:112], v[69:70]
	v_add_f64_e32 v[39:40], v[91:92], v[39:40]
	v_fma_f64 v[111:112], v[12:13], s[10:11], v[231:232]
	v_add_f64_e32 v[4:5], v[24:25], v[4:5]
	v_fma_f64 v[117:118], v[99:100], s[10:11], v[229:230]
	v_fma_f64 v[24:25], v[99:100], s[2:3], v[60:61]
	v_add_f64_e32 v[60:61], v[159:160], v[87:88]
	v_add_f64_e32 v[87:88], v[109:110], v[89:90]
	;; [unrolled: 1-line block ×3, first 2 shown]
	v_fma_f64 v[121:122], v[12:13], s[10:11], -v[231:232]
	v_fma_f64 v[75:76], v[99:100], s[12:13], v[215:216]
	v_fma_f64 v[85:86], v[99:100], s[16:17], -v[227:228]
	v_fma_f64 v[93:94], v[99:100], s[16:17], v[227:228]
	v_fma_f64 v[103:104], v[99:100], s[14:15], v[191:192]
	;; [unrolled: 1-line block ×3, first 2 shown]
	v_add_f64_e32 v[89:90], v[179:180], v[97:98]
	v_add_f64_e32 v[97:98], v[183:184], v[20:21]
	;; [unrolled: 1-line block ×3, first 2 shown]
	v_fma_f64 v[125:126], v[12:13], s[6:7], -v[199:200]
	v_add_f64_e32 v[51:52], v[181:182], v[51:52]
	v_add_f64_e32 v[49:50], v[123:124], v[49:50]
	;; [unrolled: 1-line block ×5, first 2 shown]
	v_fma_f64 v[123:124], v[12:13], s[12:13], -v[219:220]
	v_fma_f64 v[115:116], v[12:13], s[14:15], -v[193:194]
	;; [unrolled: 1-line block ×3, first 2 shown]
	v_add_f64_e32 v[83:84], v[83:84], v[105:106]
	v_add_f64_e32 v[67:68], v[177:178], v[67:68]
	v_fma_f64 v[105:106], v[12:13], s[16:17], -v[235:236]
	v_add_f64_e32 v[53:54], v[53:54], v[119:120]
	v_fma_f64 v[119:120], v[12:13], s[16:17], v[235:236]
	v_add_f64_e32 v[127:128], v[26:27], v[6:7]
	v_add_f64_e32 v[8:9], v[113:114], v[30:31]
	;; [unrolled: 1-line block ×25, first 2 shown]
	v_mov_b32_e32 v60, 0
	v_add_f64_e32 v[53:54], v[119:120], v[53:54]
	v_add_f64_e32 v[2:3], v[127:128], v[2:3]
	v_mov_b32_e32 v61, 0
	ds_store_b128 v32, v[8:11] offset:32
	ds_store_b128 v32, v[12:15] offset:48
	;; [unrolled: 1-line block ×12, first 2 shown]
	ds_store_b128 v32, v[0:3]
	global_wb scope:SCOPE_SE
	s_wait_dscnt 0x0
	s_barrier_signal -1
	s_barrier_wait -1
	global_inv scope:SCOPE_SE
	ds_load_b128 v[12:15], v33
	ds_load_b128 v[16:19], v65 offset:32
	ds_load_b128 v[32:35], v65 offset:208
	;; [unrolled: 1-line block ×11, first 2 shown]
                                        ; implicit-def: $vgpr2_vgpr3
	s_and_saveexec_b32 s1, s0
	s_cbranch_execz .LBB0_21
; %bb.20:
	ds_load_b128 v[4:7], v62 offset:192
	ds_load_b128 v[0:3], v62 offset:400
	v_mov_b32_e32 v60, 12
	v_mov_b32_e32 v61, 0
.LBB0_21:
	s_wait_alu 0xfffe
	s_or_b32 exec_lo, exec_lo, s1
	s_clause 0x5
	global_load_b128 v[67:70], v64, s[4:5]
	global_load_b128 v[71:74], v63, s[4:5] offset:32
	global_load_b128 v[75:78], v63, s[4:5] offset:64
	;; [unrolled: 1-line block ×5, first 2 shown]
	v_lshl_add_u32 v57, v57, 4, v66
	global_wb scope:SCOPE_SE
	s_wait_loadcnt_dscnt 0x0
	s_barrier_signal -1
	s_barrier_wait -1
	global_inv scope:SCOPE_SE
	v_mul_f64_e32 v[63:64], v[34:35], v[69:70]
	v_mul_f64_e32 v[69:70], v[32:33], v[69:70]
	v_mul_f64_e32 v[91:92], v[38:39], v[73:74]
	v_mul_f64_e32 v[73:74], v[36:37], v[73:74]
	v_mul_f64_e32 v[93:94], v[46:47], v[77:78]
	v_mul_f64_e32 v[77:78], v[44:45], v[77:78]
	v_mul_f64_e32 v[95:96], v[42:43], v[81:82]
	v_mul_f64_e32 v[81:82], v[40:41], v[81:82]
	v_mul_f64_e32 v[97:98], v[54:55], v[85:86]
	v_mul_f64_e32 v[85:86], v[52:53], v[85:86]
	v_mul_f64_e32 v[99:100], v[50:51], v[89:90]
	v_mul_f64_e32 v[89:90], v[48:49], v[89:90]
	v_fma_f64 v[32:33], v[32:33], v[67:68], -v[63:64]
	v_fma_f64 v[34:35], v[34:35], v[67:68], v[69:70]
	v_fma_f64 v[36:37], v[36:37], v[71:72], -v[91:92]
	v_fma_f64 v[38:39], v[38:39], v[71:72], v[73:74]
	;; [unrolled: 2-line block ×6, first 2 shown]
	v_add_f64_e64 v[32:33], v[12:13], -v[32:33]
	v_add_f64_e64 v[34:35], v[14:15], -v[34:35]
	;; [unrolled: 1-line block ×12, first 2 shown]
	v_fma_f64 v[12:13], v[12:13], 2.0, -v[32:33]
	v_fma_f64 v[14:15], v[14:15], 2.0, -v[34:35]
	;; [unrolled: 1-line block ×12, first 2 shown]
	ds_store_b128 v65, v[32:35] offset:208
	ds_store_b128 v57, v[36:39] offset:240
	;; [unrolled: 1-line block ×4, first 2 shown]
	ds_store_b128 v65, v[12:15]
	ds_store_b128 v65, v[16:19] offset:32
	ds_store_b128 v65, v[20:23] offset:64
	;; [unrolled: 1-line block ×7, first 2 shown]
	s_and_saveexec_b32 s1, s0
	s_cbranch_execz .LBB0_23
; %bb.22:
	v_lshlrev_b32_e32 v8, 4, v60
	global_load_b128 v[8:11], v8, s[4:5]
	s_wait_loadcnt 0x0
	v_mul_f64_e32 v[12:13], v[0:1], v[10:11]
	v_mul_f64_e32 v[10:11], v[2:3], v[10:11]
	s_delay_alu instid0(VALU_DEP_2) | instskip(NEXT) | instid1(VALU_DEP_2)
	v_fma_f64 v[2:3], v[2:3], v[8:9], v[12:13]
	v_fma_f64 v[0:1], v[0:1], v[8:9], -v[10:11]
	s_delay_alu instid0(VALU_DEP_2) | instskip(NEXT) | instid1(VALU_DEP_2)
	v_add_f64_e64 v[2:3], v[6:7], -v[2:3]
	v_add_f64_e64 v[0:1], v[4:5], -v[0:1]
	s_delay_alu instid0(VALU_DEP_2) | instskip(NEXT) | instid1(VALU_DEP_2)
	v_fma_f64 v[6:7], v[6:7], 2.0, -v[2:3]
	v_fma_f64 v[4:5], v[4:5], 2.0, -v[0:1]
	ds_store_b128 v62, v[4:7] offset:192
	ds_store_b128 v62, v[0:3] offset:400
.LBB0_23:
	s_wait_alu 0xfffe
	s_or_b32 exec_lo, exec_lo, s1
	global_wb scope:SCOPE_SE
	s_wait_dscnt 0x0
	s_barrier_signal -1
	s_barrier_wait -1
	global_inv scope:SCOPE_SE
	s_and_saveexec_b32 s0, vcc_lo
	s_cbranch_execz .LBB0_25
; %bb.24:
	v_dual_mov_b32 v57, 0 :: v_dual_add_nc_u32 v8, 2, v56
	v_add_co_u32 v30, vcc_lo, s8, v58
	v_lshl_add_u32 v28, v56, 4, v62
	s_delay_alu instid0(VALU_DEP_3) | instskip(SKIP_4) | instid1(VALU_DEP_4)
	v_lshlrev_b64_e32 v[0:1], 4, v[56:57]
	s_wait_alu 0xfffd
	v_add_co_ci_u32_e32 v31, vcc_lo, s9, v59, vcc_lo
	v_dual_mov_b32 v9, v57 :: v_dual_add_nc_u32 v10, 4, v56
	v_dual_mov_b32 v11, v57 :: v_dual_add_nc_u32 v22, 6, v56
	v_add_co_u32 v16, vcc_lo, v30, v0
	s_wait_alu 0xfffd
	v_add_co_ci_u32_e32 v17, vcc_lo, v31, v1, vcc_lo
	ds_load_b128 v[0:3], v28
	ds_load_b128 v[4:7], v28 offset:32
	v_lshlrev_b64_e32 v[18:19], 4, v[8:9]
	v_lshlrev_b64_e32 v[20:21], 4, v[10:11]
	ds_load_b128 v[8:11], v28 offset:64
	ds_load_b128 v[12:15], v28 offset:96
	v_dual_mov_b32 v23, v57 :: v_dual_add_nc_u32 v24, 8, v56
	v_mov_b32_e32 v25, v57
	v_add_co_u32 v18, vcc_lo, v30, v18
	s_delay_alu instid0(VALU_DEP_3)
	v_lshlrev_b64_e32 v[22:23], 4, v[22:23]
	s_wait_alu 0xfffd
	v_add_co_ci_u32_e32 v19, vcc_lo, v31, v19, vcc_lo
	v_add_co_u32 v20, vcc_lo, v30, v20
	s_wait_alu 0xfffd
	v_add_co_ci_u32_e32 v21, vcc_lo, v31, v21, vcc_lo
	v_add_co_u32 v22, vcc_lo, v30, v22
	s_wait_alu 0xfffd
	v_add_co_ci_u32_e32 v23, vcc_lo, v31, v23, vcc_lo
	s_wait_dscnt 0x3
	global_store_b128 v[16:17], v[0:3], off
	s_wait_dscnt 0x2
	global_store_b128 v[18:19], v[4:7], off
	;; [unrolled: 2-line block ×4, first 2 shown]
	v_add_nc_u32_e32 v8, 10, v56
	v_lshlrev_b64_e32 v[0:1], 4, v[24:25]
	v_dual_mov_b32 v9, v57 :: v_dual_add_nc_u32 v10, 12, v56
	v_dual_mov_b32 v11, v57 :: v_dual_add_nc_u32 v22, 14, v56
	;; [unrolled: 1-line block ×3, first 2 shown]
	s_delay_alu instid0(VALU_DEP_4)
	v_add_co_u32 v16, vcc_lo, v30, v0
	s_wait_alu 0xfffd
	v_add_co_ci_u32_e32 v17, vcc_lo, v31, v1, vcc_lo
	ds_load_b128 v[0:3], v28 offset:128
	ds_load_b128 v[4:7], v28 offset:160
	v_lshlrev_b64_e32 v[18:19], 4, v[8:9]
	v_lshlrev_b64_e32 v[20:21], 4, v[10:11]
	ds_load_b128 v[8:11], v28 offset:192
	ds_load_b128 v[12:15], v28 offset:224
	v_lshlrev_b64_e32 v[22:23], 4, v[22:23]
	v_dual_mov_b32 v27, v57 :: v_dual_add_nc_u32 v26, 18, v56
	v_add_co_u32 v18, vcc_lo, v30, v18
	s_wait_alu 0xfffd
	v_add_co_ci_u32_e32 v19, vcc_lo, v31, v19, vcc_lo
	v_add_co_u32 v20, vcc_lo, v30, v20
	s_wait_alu 0xfffd
	v_add_co_ci_u32_e32 v21, vcc_lo, v31, v21, vcc_lo
	v_add_co_u32 v22, vcc_lo, v30, v22
	v_lshlrev_b64_e32 v[24:25], 4, v[24:25]
	s_wait_alu 0xfffd
	v_add_co_ci_u32_e32 v23, vcc_lo, v31, v23, vcc_lo
	s_wait_dscnt 0x3
	global_store_b128 v[16:17], v[0:3], off
	s_wait_dscnt 0x2
	global_store_b128 v[18:19], v[4:7], off
	s_wait_dscnt 0x1
	global_store_b128 v[20:21], v[8:11], off
	s_wait_dscnt 0x0
	global_store_b128 v[22:23], v[12:15], off
	v_lshlrev_b64_e32 v[0:1], 4, v[26:27]
	v_add_co_u32 v20, vcc_lo, v30, v24
	v_dual_mov_b32 v9, v57 :: v_dual_add_nc_u32 v8, 20, v56
	s_wait_alu 0xfffd
	v_add_co_ci_u32_e32 v21, vcc_lo, v31, v25, vcc_lo
	s_delay_alu instid0(VALU_DEP_4)
	v_add_co_u32 v22, vcc_lo, v30, v0
	s_wait_alu 0xfffd
	v_add_co_ci_u32_e32 v23, vcc_lo, v31, v1, vcc_lo
	ds_load_b128 v[0:3], v28 offset:256
	ds_load_b128 v[4:7], v28 offset:288
	v_lshlrev_b64_e32 v[26:27], 4, v[8:9]
	ds_load_b128 v[8:11], v28 offset:320
	ds_load_b128 v[12:15], v28 offset:352
	;; [unrolled: 1-line block ×3, first 2 shown]
	v_dual_mov_b32 v25, v57 :: v_dual_add_nc_u32 v24, 22, v56
	v_add_nc_u32_e32 v56, 24, v56
	v_add_co_u32 v26, vcc_lo, v30, v26
	s_delay_alu instid0(VALU_DEP_3) | instskip(NEXT) | instid1(VALU_DEP_3)
	v_lshlrev_b64_e32 v[24:25], 4, v[24:25]
	v_lshlrev_b64_e32 v[28:29], 4, v[56:57]
	s_wait_alu 0xfffd
	v_add_co_ci_u32_e32 v27, vcc_lo, v31, v27, vcc_lo
	s_delay_alu instid0(VALU_DEP_3)
	v_add_co_u32 v24, vcc_lo, v30, v24
	s_wait_alu 0xfffd
	v_add_co_ci_u32_e32 v25, vcc_lo, v31, v25, vcc_lo
	v_add_co_u32 v28, vcc_lo, v30, v28
	s_wait_alu 0xfffd
	v_add_co_ci_u32_e32 v29, vcc_lo, v31, v29, vcc_lo
	s_wait_dscnt 0x4
	global_store_b128 v[20:21], v[0:3], off
	s_wait_dscnt 0x3
	global_store_b128 v[22:23], v[4:7], off
	;; [unrolled: 2-line block ×5, first 2 shown]
.LBB0_25:
	s_nop 0
	s_sendmsg sendmsg(MSG_DEALLOC_VGPRS)
	s_endpgm
	.section	.rodata,"a",@progbits
	.p2align	6, 0x0
	.amdhsa_kernel fft_rtc_fwd_len26_factors_13_2_wgs_64_tpt_2_halfLds_dp_ip_CI_unitstride_sbrr_C2R_dirReg
		.amdhsa_group_segment_fixed_size 0
		.amdhsa_private_segment_fixed_size 0
		.amdhsa_kernarg_size 88
		.amdhsa_user_sgpr_count 2
		.amdhsa_user_sgpr_dispatch_ptr 0
		.amdhsa_user_sgpr_queue_ptr 0
		.amdhsa_user_sgpr_kernarg_segment_ptr 1
		.amdhsa_user_sgpr_dispatch_id 0
		.amdhsa_user_sgpr_private_segment_size 0
		.amdhsa_wavefront_size32 1
		.amdhsa_uses_dynamic_stack 0
		.amdhsa_enable_private_segment 0
		.amdhsa_system_sgpr_workgroup_id_x 1
		.amdhsa_system_sgpr_workgroup_id_y 0
		.amdhsa_system_sgpr_workgroup_id_z 0
		.amdhsa_system_sgpr_workgroup_info 0
		.amdhsa_system_vgpr_workitem_id 0
		.amdhsa_next_free_vgpr 243
		.amdhsa_next_free_sgpr 42
		.amdhsa_reserve_vcc 1
		.amdhsa_float_round_mode_32 0
		.amdhsa_float_round_mode_16_64 0
		.amdhsa_float_denorm_mode_32 3
		.amdhsa_float_denorm_mode_16_64 3
		.amdhsa_fp16_overflow 0
		.amdhsa_workgroup_processor_mode 1
		.amdhsa_memory_ordered 1
		.amdhsa_forward_progress 0
		.amdhsa_round_robin_scheduling 0
		.amdhsa_exception_fp_ieee_invalid_op 0
		.amdhsa_exception_fp_denorm_src 0
		.amdhsa_exception_fp_ieee_div_zero 0
		.amdhsa_exception_fp_ieee_overflow 0
		.amdhsa_exception_fp_ieee_underflow 0
		.amdhsa_exception_fp_ieee_inexact 0
		.amdhsa_exception_int_div_zero 0
	.end_amdhsa_kernel
	.text
.Lfunc_end0:
	.size	fft_rtc_fwd_len26_factors_13_2_wgs_64_tpt_2_halfLds_dp_ip_CI_unitstride_sbrr_C2R_dirReg, .Lfunc_end0-fft_rtc_fwd_len26_factors_13_2_wgs_64_tpt_2_halfLds_dp_ip_CI_unitstride_sbrr_C2R_dirReg
                                        ; -- End function
	.section	.AMDGPU.csdata,"",@progbits
; Kernel info:
; codeLenInByte = 7508
; NumSgprs: 44
; NumVgprs: 243
; ScratchSize: 0
; MemoryBound: 0
; FloatMode: 240
; IeeeMode: 1
; LDSByteSize: 0 bytes/workgroup (compile time only)
; SGPRBlocks: 5
; VGPRBlocks: 30
; NumSGPRsForWavesPerEU: 44
; NumVGPRsForWavesPerEU: 243
; Occupancy: 5
; WaveLimiterHint : 1
; COMPUTE_PGM_RSRC2:SCRATCH_EN: 0
; COMPUTE_PGM_RSRC2:USER_SGPR: 2
; COMPUTE_PGM_RSRC2:TRAP_HANDLER: 0
; COMPUTE_PGM_RSRC2:TGID_X_EN: 1
; COMPUTE_PGM_RSRC2:TGID_Y_EN: 0
; COMPUTE_PGM_RSRC2:TGID_Z_EN: 0
; COMPUTE_PGM_RSRC2:TIDIG_COMP_CNT: 0
	.text
	.p2alignl 7, 3214868480
	.fill 96, 4, 3214868480
	.type	__hip_cuid_9163891b3672fe14,@object ; @__hip_cuid_9163891b3672fe14
	.section	.bss,"aw",@nobits
	.globl	__hip_cuid_9163891b3672fe14
__hip_cuid_9163891b3672fe14:
	.byte	0                               ; 0x0
	.size	__hip_cuid_9163891b3672fe14, 1

	.ident	"AMD clang version 19.0.0git (https://github.com/RadeonOpenCompute/llvm-project roc-6.4.0 25133 c7fe45cf4b819c5991fe208aaa96edf142730f1d)"
	.section	".note.GNU-stack","",@progbits
	.addrsig
	.addrsig_sym __hip_cuid_9163891b3672fe14
	.amdgpu_metadata
---
amdhsa.kernels:
  - .args:
      - .actual_access:  read_only
        .address_space:  global
        .offset:         0
        .size:           8
        .value_kind:     global_buffer
      - .offset:         8
        .size:           8
        .value_kind:     by_value
      - .actual_access:  read_only
        .address_space:  global
        .offset:         16
        .size:           8
        .value_kind:     global_buffer
      - .actual_access:  read_only
        .address_space:  global
        .offset:         24
        .size:           8
        .value_kind:     global_buffer
      - .offset:         32
        .size:           8
        .value_kind:     by_value
      - .actual_access:  read_only
        .address_space:  global
        .offset:         40
        .size:           8
        .value_kind:     global_buffer
      - .actual_access:  read_only
        .address_space:  global
        .offset:         48
        .size:           8
        .value_kind:     global_buffer
      - .offset:         56
        .size:           4
        .value_kind:     by_value
      - .actual_access:  read_only
        .address_space:  global
        .offset:         64
        .size:           8
        .value_kind:     global_buffer
      - .actual_access:  read_only
        .address_space:  global
        .offset:         72
        .size:           8
        .value_kind:     global_buffer
      - .address_space:  global
        .offset:         80
        .size:           8
        .value_kind:     global_buffer
    .group_segment_fixed_size: 0
    .kernarg_segment_align: 8
    .kernarg_segment_size: 88
    .language:       OpenCL C
    .language_version:
      - 2
      - 0
    .max_flat_workgroup_size: 64
    .name:           fft_rtc_fwd_len26_factors_13_2_wgs_64_tpt_2_halfLds_dp_ip_CI_unitstride_sbrr_C2R_dirReg
    .private_segment_fixed_size: 0
    .sgpr_count:     44
    .sgpr_spill_count: 0
    .symbol:         fft_rtc_fwd_len26_factors_13_2_wgs_64_tpt_2_halfLds_dp_ip_CI_unitstride_sbrr_C2R_dirReg.kd
    .uniform_work_group_size: 1
    .uses_dynamic_stack: false
    .vgpr_count:     243
    .vgpr_spill_count: 0
    .wavefront_size: 32
    .workgroup_processor_mode: 1
amdhsa.target:   amdgcn-amd-amdhsa--gfx1201
amdhsa.version:
  - 1
  - 2
...

	.end_amdgpu_metadata
